;; amdgpu-corpus repo=ROCm/rocFFT kind=compiled arch=gfx906 opt=O3
	.text
	.amdgcn_target "amdgcn-amd-amdhsa--gfx906"
	.amdhsa_code_object_version 6
	.protected	fft_rtc_fwd_len672_factors_2_2_2_2_2_3_7_wgs_56_tpt_56_halfLds_dp_op_CI_CI_unitstride_sbrr_dirReg ; -- Begin function fft_rtc_fwd_len672_factors_2_2_2_2_2_3_7_wgs_56_tpt_56_halfLds_dp_op_CI_CI_unitstride_sbrr_dirReg
	.globl	fft_rtc_fwd_len672_factors_2_2_2_2_2_3_7_wgs_56_tpt_56_halfLds_dp_op_CI_CI_unitstride_sbrr_dirReg
	.p2align	8
	.type	fft_rtc_fwd_len672_factors_2_2_2_2_2_3_7_wgs_56_tpt_56_halfLds_dp_op_CI_CI_unitstride_sbrr_dirReg,@function
fft_rtc_fwd_len672_factors_2_2_2_2_2_3_7_wgs_56_tpt_56_halfLds_dp_op_CI_CI_unitstride_sbrr_dirReg: ; @fft_rtc_fwd_len672_factors_2_2_2_2_2_3_7_wgs_56_tpt_56_halfLds_dp_op_CI_CI_unitstride_sbrr_dirReg
; %bb.0:
	s_load_dwordx4 s[12:15], s[4:5], 0x58
	s_load_dwordx4 s[8:11], s[4:5], 0x0
	;; [unrolled: 1-line block ×3, first 2 shown]
	v_mul_u32_u24_e32 v1, 0x493, v0
	v_add_u32_sdwa v6, s6, v1 dst_sel:DWORD dst_unused:UNUSED_PAD src0_sel:DWORD src1_sel:WORD_1
	v_mov_b32_e32 v1, 0
	s_waitcnt lgkmcnt(0)
	v_cmp_lt_u64_e64 s[0:1], s[10:11], 2
	v_mov_b32_e32 v4, 0
	v_mov_b32_e32 v7, v1
	s_and_b64 vcc, exec, s[0:1]
	v_mov_b32_e32 v5, 0
	s_cbranch_vccnz .LBB0_8
; %bb.1:
	s_load_dwordx2 s[0:1], s[4:5], 0x10
	s_add_u32 s2, s18, 8
	s_addc_u32 s3, s19, 0
	s_add_u32 s6, s16, 8
	v_mov_b32_e32 v4, 0
	s_addc_u32 s7, s17, 0
	v_mov_b32_e32 v5, 0
	s_waitcnt lgkmcnt(0)
	s_add_u32 s20, s0, 8
	v_mov_b32_e32 v49, v5
	s_addc_u32 s21, s1, 0
	s_mov_b64 s[22:23], 1
	v_mov_b32_e32 v48, v4
.LBB0_2:                                ; =>This Inner Loop Header: Depth=1
	s_load_dwordx2 s[24:25], s[20:21], 0x0
                                        ; implicit-def: $vgpr50_vgpr51
	s_waitcnt lgkmcnt(0)
	v_or_b32_e32 v2, s25, v7
	v_cmp_ne_u64_e32 vcc, 0, v[1:2]
	s_and_saveexec_b64 s[0:1], vcc
	s_xor_b64 s[26:27], exec, s[0:1]
	s_cbranch_execz .LBB0_4
; %bb.3:                                ;   in Loop: Header=BB0_2 Depth=1
	v_cvt_f32_u32_e32 v2, s24
	v_cvt_f32_u32_e32 v3, s25
	s_sub_u32 s0, 0, s24
	s_subb_u32 s1, 0, s25
	v_mac_f32_e32 v2, 0x4f800000, v3
	v_rcp_f32_e32 v2, v2
	v_mul_f32_e32 v2, 0x5f7ffffc, v2
	v_mul_f32_e32 v3, 0x2f800000, v2
	v_trunc_f32_e32 v3, v3
	v_mac_f32_e32 v2, 0xcf800000, v3
	v_cvt_u32_f32_e32 v3, v3
	v_cvt_u32_f32_e32 v2, v2
	v_mul_lo_u32 v8, s0, v3
	v_mul_hi_u32 v9, s0, v2
	v_mul_lo_u32 v11, s1, v2
	v_mul_lo_u32 v10, s0, v2
	v_add_u32_e32 v8, v9, v8
	v_add_u32_e32 v8, v8, v11
	v_mul_hi_u32 v9, v2, v10
	v_mul_lo_u32 v11, v2, v8
	v_mul_hi_u32 v13, v2, v8
	v_mul_hi_u32 v12, v3, v10
	v_mul_lo_u32 v10, v3, v10
	v_mul_hi_u32 v14, v3, v8
	v_add_co_u32_e32 v9, vcc, v9, v11
	v_addc_co_u32_e32 v11, vcc, 0, v13, vcc
	v_mul_lo_u32 v8, v3, v8
	v_add_co_u32_e32 v9, vcc, v9, v10
	v_addc_co_u32_e32 v9, vcc, v11, v12, vcc
	v_addc_co_u32_e32 v10, vcc, 0, v14, vcc
	v_add_co_u32_e32 v8, vcc, v9, v8
	v_addc_co_u32_e32 v9, vcc, 0, v10, vcc
	v_add_co_u32_e32 v2, vcc, v2, v8
	v_addc_co_u32_e32 v3, vcc, v3, v9, vcc
	v_mul_lo_u32 v8, s0, v3
	v_mul_hi_u32 v9, s0, v2
	v_mul_lo_u32 v10, s1, v2
	v_mul_lo_u32 v11, s0, v2
	v_add_u32_e32 v8, v9, v8
	v_add_u32_e32 v8, v8, v10
	v_mul_lo_u32 v12, v2, v8
	v_mul_hi_u32 v13, v2, v11
	v_mul_hi_u32 v14, v2, v8
	v_mul_hi_u32 v10, v3, v11
	v_mul_lo_u32 v11, v3, v11
	v_mul_hi_u32 v9, v3, v8
	v_add_co_u32_e32 v12, vcc, v13, v12
	v_addc_co_u32_e32 v13, vcc, 0, v14, vcc
	v_mul_lo_u32 v8, v3, v8
	v_add_co_u32_e32 v11, vcc, v12, v11
	v_addc_co_u32_e32 v10, vcc, v13, v10, vcc
	v_addc_co_u32_e32 v9, vcc, 0, v9, vcc
	v_add_co_u32_e32 v8, vcc, v10, v8
	v_addc_co_u32_e32 v9, vcc, 0, v9, vcc
	v_add_co_u32_e32 v8, vcc, v2, v8
	v_addc_co_u32_e32 v9, vcc, v3, v9, vcc
	v_mad_u64_u32 v[2:3], s[0:1], v6, v9, 0
	v_mul_hi_u32 v10, v6, v8
	v_add_co_u32_e32 v10, vcc, v10, v2
	v_addc_co_u32_e32 v11, vcc, 0, v3, vcc
	v_mad_u64_u32 v[2:3], s[0:1], v7, v8, 0
	v_mad_u64_u32 v[8:9], s[0:1], v7, v9, 0
	v_add_co_u32_e32 v2, vcc, v10, v2
	v_addc_co_u32_e32 v2, vcc, v11, v3, vcc
	v_addc_co_u32_e32 v3, vcc, 0, v9, vcc
	v_add_co_u32_e32 v8, vcc, v2, v8
	v_addc_co_u32_e32 v9, vcc, 0, v3, vcc
	v_mul_lo_u32 v10, s25, v8
	v_mul_lo_u32 v11, s24, v9
	v_mad_u64_u32 v[2:3], s[0:1], s24, v8, 0
	v_add3_u32 v3, v3, v11, v10
	v_sub_u32_e32 v10, v7, v3
	v_mov_b32_e32 v11, s25
	v_sub_co_u32_e32 v2, vcc, v6, v2
	v_subb_co_u32_e64 v10, s[0:1], v10, v11, vcc
	v_subrev_co_u32_e64 v11, s[0:1], s24, v2
	v_subbrev_co_u32_e64 v10, s[0:1], 0, v10, s[0:1]
	v_cmp_le_u32_e64 s[0:1], s25, v10
	v_cndmask_b32_e64 v12, 0, -1, s[0:1]
	v_cmp_le_u32_e64 s[0:1], s24, v11
	v_cndmask_b32_e64 v11, 0, -1, s[0:1]
	v_cmp_eq_u32_e64 s[0:1], s25, v10
	v_cndmask_b32_e64 v10, v12, v11, s[0:1]
	v_add_co_u32_e64 v11, s[0:1], 2, v8
	v_addc_co_u32_e64 v12, s[0:1], 0, v9, s[0:1]
	v_add_co_u32_e64 v13, s[0:1], 1, v8
	v_addc_co_u32_e64 v14, s[0:1], 0, v9, s[0:1]
	v_subb_co_u32_e32 v3, vcc, v7, v3, vcc
	v_cmp_ne_u32_e64 s[0:1], 0, v10
	v_cmp_le_u32_e32 vcc, s25, v3
	v_cndmask_b32_e64 v10, v14, v12, s[0:1]
	v_cndmask_b32_e64 v12, 0, -1, vcc
	v_cmp_le_u32_e32 vcc, s24, v2
	v_cndmask_b32_e64 v2, 0, -1, vcc
	v_cmp_eq_u32_e32 vcc, s25, v3
	v_cndmask_b32_e32 v2, v12, v2, vcc
	v_cmp_ne_u32_e32 vcc, 0, v2
	v_cndmask_b32_e64 v2, v13, v11, s[0:1]
	v_cndmask_b32_e32 v51, v9, v10, vcc
	v_cndmask_b32_e32 v50, v8, v2, vcc
.LBB0_4:                                ;   in Loop: Header=BB0_2 Depth=1
	s_andn2_saveexec_b64 s[0:1], s[26:27]
	s_cbranch_execz .LBB0_6
; %bb.5:                                ;   in Loop: Header=BB0_2 Depth=1
	v_cvt_f32_u32_e32 v2, s24
	s_sub_i32 s26, 0, s24
	v_mov_b32_e32 v51, v1
	v_rcp_iflag_f32_e32 v2, v2
	v_mul_f32_e32 v2, 0x4f7ffffe, v2
	v_cvt_u32_f32_e32 v2, v2
	v_mul_lo_u32 v3, s26, v2
	v_mul_hi_u32 v3, v2, v3
	v_add_u32_e32 v2, v2, v3
	v_mul_hi_u32 v2, v6, v2
	v_mul_lo_u32 v3, v2, s24
	v_add_u32_e32 v8, 1, v2
	v_sub_u32_e32 v3, v6, v3
	v_subrev_u32_e32 v9, s24, v3
	v_cmp_le_u32_e32 vcc, s24, v3
	v_cndmask_b32_e32 v3, v3, v9, vcc
	v_cndmask_b32_e32 v2, v2, v8, vcc
	v_add_u32_e32 v8, 1, v2
	v_cmp_le_u32_e32 vcc, s24, v3
	v_cndmask_b32_e32 v50, v2, v8, vcc
.LBB0_6:                                ;   in Loop: Header=BB0_2 Depth=1
	s_or_b64 exec, exec, s[0:1]
	v_mul_lo_u32 v8, v51, s24
	v_mul_lo_u32 v9, v50, s25
	v_mad_u64_u32 v[2:3], s[0:1], v50, s24, 0
	s_load_dwordx2 s[0:1], s[6:7], 0x0
	s_load_dwordx2 s[24:25], s[2:3], 0x0
	v_add3_u32 v3, v3, v9, v8
	v_sub_co_u32_e32 v2, vcc, v6, v2
	v_subb_co_u32_e32 v3, vcc, v7, v3, vcc
	s_waitcnt lgkmcnt(0)
	v_mul_lo_u32 v6, s0, v3
	v_mul_lo_u32 v7, s1, v2
	v_mad_u64_u32 v[4:5], s[0:1], s0, v2, v[4:5]
	v_mul_lo_u32 v3, s24, v3
	v_mul_lo_u32 v8, s25, v2
	v_mad_u64_u32 v[48:49], s[0:1], s24, v2, v[48:49]
	s_add_u32 s22, s22, 1
	s_addc_u32 s23, s23, 0
	s_add_u32 s2, s2, 8
	v_add3_u32 v49, v8, v49, v3
	s_addc_u32 s3, s3, 0
	v_mov_b32_e32 v2, s10
	s_add_u32 s6, s6, 8
	v_mov_b32_e32 v3, s11
	s_addc_u32 s7, s7, 0
	v_cmp_ge_u64_e32 vcc, s[22:23], v[2:3]
	s_add_u32 s20, s20, 8
	v_add3_u32 v5, v7, v5, v6
	s_addc_u32 s21, s21, 0
	s_cbranch_vccnz .LBB0_9
; %bb.7:                                ;   in Loop: Header=BB0_2 Depth=1
	v_mov_b32_e32 v6, v50
	v_mov_b32_e32 v7, v51
	s_branch .LBB0_2
.LBB0_8:
	v_mov_b32_e32 v49, v5
	v_mov_b32_e32 v51, v7
	;; [unrolled: 1-line block ×4, first 2 shown]
.LBB0_9:
	s_load_dwordx2 s[0:1], s[4:5], 0x28
	s_lshl_b64 s[6:7], s[10:11], 3
	s_add_u32 s2, s18, s6
	s_addc_u32 s3, s19, s7
                                        ; implicit-def: $vgpr72
	s_waitcnt lgkmcnt(0)
	v_cmp_gt_u64_e32 vcc, s[0:1], v[50:51]
	v_cmp_le_u64_e64 s[0:1], s[0:1], v[50:51]
	s_and_saveexec_b64 s[4:5], s[0:1]
	s_xor_b64 s[0:1], exec, s[4:5]
; %bb.10:
	s_mov_b32 s4, 0x4924925
	v_mul_hi_u32 v1, v0, s4
                                        ; implicit-def: $vgpr4_vgpr5
	v_mul_u32_u24_e32 v1, 56, v1
	v_sub_u32_e32 v72, v0, v1
                                        ; implicit-def: $vgpr0
; %bb.11:
	s_or_saveexec_b64 s[4:5], s[0:1]
                                        ; implicit-def: $vgpr42_vgpr43
                                        ; implicit-def: $vgpr26_vgpr27
                                        ; implicit-def: $vgpr38_vgpr39
                                        ; implicit-def: $vgpr18_vgpr19
                                        ; implicit-def: $vgpr22_vgpr23
                                        ; implicit-def: $vgpr10_vgpr11
                                        ; implicit-def: $vgpr30_vgpr31
                                        ; implicit-def: $vgpr14_vgpr15
                                        ; implicit-def: $vgpr34_vgpr35
                                        ; implicit-def: $vgpr2_vgpr3
                                        ; implicit-def: $vgpr46_vgpr47
                                        ; implicit-def: $vgpr6_vgpr7
	s_xor_b64 exec, exec, s[4:5]
	s_cbranch_execz .LBB0_13
; %bb.12:
	s_add_u32 s0, s16, s6
	s_addc_u32 s1, s17, s7
	s_load_dwordx2 s[0:1], s[0:1], 0x0
	s_mov_b32 s6, 0x4924925
	v_mul_hi_u32 v3, v0, s6
	s_waitcnt lgkmcnt(0)
	v_mul_lo_u32 v6, s1, v50
	v_mul_lo_u32 v7, s0, v51
	v_mad_u64_u32 v[1:2], s[0:1], s0, v50, 0
	v_mul_u32_u24_e32 v3, 56, v3
	v_sub_u32_e32 v72, v0, v3
	v_add3_u32 v2, v2, v7, v6
	v_lshlrev_b64 v[0:1], 4, v[1:2]
	v_mov_b32_e32 v2, s13
	v_add_co_u32_e64 v3, s[0:1], s12, v0
	v_addc_co_u32_e64 v2, s[0:1], v2, v1, s[0:1]
	v_lshlrev_b64 v[0:1], 4, v[4:5]
	v_lshlrev_b32_e32 v10, 4, v72
	v_add_co_u32_e64 v8, s[0:1], v3, v0
	v_addc_co_u32_e64 v9, s[0:1], v2, v1, s[0:1]
	v_add_co_u32_e64 v52, s[0:1], v8, v10
	v_addc_co_u32_e64 v53, s[0:1], 0, v9, s[0:1]
	s_movk_i32 s0, 0x1000
	v_add_co_u32_e64 v54, s[0:1], s0, v52
	v_addc_co_u32_e64 v55, s[0:1], 0, v53, s[0:1]
	v_or_b32_e32 v10, 0x1c00, v10
	v_add_co_u32_e64 v56, s[0:1], v8, v10
	v_addc_co_u32_e64 v57, s[0:1], 0, v9, s[0:1]
	s_movk_i32 s0, 0x2000
	v_add_co_u32_e64 v58, s[0:1], s0, v52
	global_load_dwordx4 v[4:7], v[52:53], off
	global_load_dwordx4 v[0:3], v[52:53], off offset:896
	v_addc_co_u32_e64 v59, s[0:1], 0, v53, s[0:1]
	global_load_dwordx4 v[12:15], v[52:53], off offset:1792
	global_load_dwordx4 v[8:11], v[52:53], off offset:2688
	global_load_dwordx4 v[44:47], v[54:55], off offset:1280
	global_load_dwordx4 v[32:35], v[54:55], off offset:2176
	global_load_dwordx4 v[28:31], v[56:57], off
	global_load_dwordx4 v[20:23], v[54:55], off offset:3968
	global_load_dwordx4 v[16:19], v[52:53], off offset:3584
	global_load_dwordx4 v[24:27], v[54:55], off offset:384
	global_load_dwordx4 v[36:39], v[58:59], off offset:768
	global_load_dwordx4 v[40:43], v[58:59], off offset:1664
.LBB0_13:
	s_or_b64 exec, exec, s[4:5]
	s_waitcnt vmcnt(7)
	v_add_f64 v[46:47], v[6:7], -v[46:47]
	s_waitcnt vmcnt(4)
	v_add_f64 v[66:67], v[8:9], -v[20:21]
	;; [unrolled: 2-line block ×3, first 2 shown]
	v_add_f64 v[62:63], v[12:13], -v[28:29]
	v_add_f64 v[54:55], v[4:5], -v[44:45]
	s_waitcnt vmcnt(0)
	v_add_f64 v[76:77], v[24:25], -v[40:41]
	v_add_f64 v[58:59], v[0:1], -v[32:33]
	;; [unrolled: 1-line block ×3, first 2 shown]
	v_fma_f64 v[44:45], v[6:7], 2.0, -v[46:47]
	v_fma_f64 v[64:65], v[8:9], 2.0, -v[66:67]
	v_add_f64 v[7:8], v[2:3], -v[34:35]
	v_fma_f64 v[68:69], v[16:17], 2.0, -v[70:71]
	v_add_f64 v[16:17], v[14:15], -v[30:31]
	;; [unrolled: 2-line block ×3, first 2 shown]
	v_fma_f64 v[52:53], v[4:5], 2.0, -v[54:55]
	v_fma_f64 v[74:75], v[24:25], 2.0, -v[76:77]
	v_add_f64 v[24:25], v[26:27], -v[42:43]
	v_fma_f64 v[56:57], v[0:1], 2.0, -v[58:59]
	v_fma_f64 v[5:6], v[2:3], 2.0, -v[7:8]
	;; [unrolled: 1-line block ×3, first 2 shown]
	v_add_u32_e32 v28, 0xa8, v72
	v_fma_f64 v[10:11], v[10:11], 2.0, -v[12:13]
	v_lshl_add_u32 v78, v72, 4, 0
	v_add_u32_e32 v73, 56, v72
	v_lshl_add_u32 v79, v28, 4, 0
	v_add_u32_e32 v4, 0x118, v72
	v_fma_f64 v[18:19], v[18:19], 2.0, -v[20:21]
	v_lshl_add_u32 v41, v73, 4, 0
	ds_write_b128 v78, v[52:55]
	ds_write_b128 v41, v[56:59]
	;; [unrolled: 1-line block ×3, first 2 shown]
	v_lshl_add_u32 v66, v4, 4, 0
	v_lshlrev_b32_e32 v1, 3, v72
	v_fma_f64 v[22:23], v[26:27], 2.0, -v[24:25]
	v_add_u32_e32 v0, 0x70, v72
	v_add_u32_e32 v64, 0xe0, v72
	ds_write_b128 v66, v[74:77]
	v_sub_u32_e32 v74, v78, v1
	v_and_b32_e32 v27, 1, v72
	v_lshl_add_u32 v9, v0, 4, 0
	v_lshl_add_u32 v65, v64, 4, 0
	v_add_u32_e32 v75, 0x800, v74
	v_lshlrev_b32_e32 v2, 4, v27
	ds_write_b128 v9, v[60:63]
	ds_write_b128 v65, v[68:71]
	s_load_dwordx2 s[2:3], s[2:3], 0x0
	s_waitcnt lgkmcnt(0)
	; wave barrier
	s_waitcnt lgkmcnt(0)
	v_add_u32_e32 v76, 0x400, v74
	v_add_u32_e32 v1, 0x1000, v74
	ds_read2_b64 v[52:55], v74 offset1:56
	ds_read2_b64 v[56:59], v75 offset0:80 offset1:136
	ds_read2_b64 v[60:63], v74 offset0:112 offset1:168
	;; [unrolled: 1-line block ×5, first 2 shown]
	s_waitcnt lgkmcnt(0)
	; wave barrier
	s_waitcnt lgkmcnt(0)
	ds_write_b128 v78, v[44:47]
	ds_write_b128 v41, v[5:8]
	;; [unrolled: 1-line block ×6, first 2 shown]
	s_waitcnt lgkmcnt(0)
	; wave barrier
	s_waitcnt lgkmcnt(0)
	global_load_dwordx4 v[9:12], v2, s[8:9]
	v_lshlrev_b32_e32 v2, 1, v72
	s_movk_i32 s0, 0x7c
	s_movk_i32 s1, 0xfc
	v_and_or_b32 v13, v2, s0, v27
	v_lshlrev_b32_e32 v3, 1, v73
	v_lshl_add_u32 v47, v13, 3, 0
	v_and_or_b32 v13, v3, s1, v27
	v_lshlrev_b32_e32 v6, 1, v64
	v_lshl_add_u32 v96, v13, 3, 0
	ds_read2_b64 v[13:16], v75 offset0:80 offset1:136
	ds_read2_b64 v[17:20], v75 offset0:192 offset1:248
	;; [unrolled: 1-line block ×3, first 2 shown]
	ds_read2_b64 v[41:44], v74 offset1:56
	ds_read2_b64 v[64:67], v74 offset0:112 offset1:168
	ds_read2_b64 v[68:71], v76 offset0:96 offset1:152
	s_waitcnt lgkmcnt(0)
	; wave barrier
	s_waitcnt lgkmcnt(0)
	s_movk_i32 s4, 0x1fc
	v_lshlrev_b32_e32 v5, 1, v0
	v_and_or_b32 v95, v5, s4, v27
	v_lshlrev_b32_e32 v7, 1, v28
	s_movk_i32 s0, 0x3fc
	v_lshlrev_b32_e32 v8, 1, v4
	s_movk_i32 s1, 0xf8
	s_movk_i32 s5, 0x3f8
	s_movk_i32 s6, 0x2f8
	v_and_b32_e32 v4, 15, v4
	v_and_b32_e32 v120, 31, v28
	s_mov_b32 s7, 0xbfebb67a
	s_waitcnt vmcnt(0)
	v_mul_f64 v[25:26], v[13:14], v[11:12]
	v_mul_f64 v[45:46], v[15:16], v[11:12]
	;; [unrolled: 1-line block ×8, first 2 shown]
	v_fma_f64 v[25:26], v[56:57], v[9:10], -v[25:26]
	v_fma_f64 v[45:46], v[58:59], v[9:10], -v[45:46]
	v_mul_f64 v[77:78], v[56:57], v[11:12]
	v_mul_f64 v[87:88], v[31:32], v[11:12]
	v_fma_f64 v[56:57], v[15:16], v[9:10], v[79:80]
	v_fma_f64 v[15:16], v[29:30], v[9:10], -v[81:82]
	v_fma_f64 v[29:30], v[31:32], v[9:10], -v[83:84]
	v_mul_f64 v[93:94], v[37:38], v[11:12]
	v_add_f64 v[25:26], v[52:53], -v[25:26]
	v_mul_f64 v[11:12], v[39:40], v[11:12]
	v_fma_f64 v[31:32], v[17:18], v[9:10], v[85:86]
	v_fma_f64 v[17:18], v[37:38], v[9:10], -v[89:90]
	v_fma_f64 v[37:38], v[39:40], v[9:10], -v[91:92]
	v_add_f64 v[39:40], v[54:55], -v[45:46]
	v_fma_f64 v[13:14], v[13:14], v[9:10], v[77:78]
	v_fma_f64 v[45:46], v[19:20], v[9:10], v[87:88]
	v_add_f64 v[19:20], v[62:63], -v[29:30]
	v_fma_f64 v[29:30], v[52:53], 2.0, -v[25:26]
	v_fma_f64 v[58:59], v[21:22], v[9:10], v[93:94]
	v_add_f64 v[15:16], v[60:61], -v[15:16]
	v_add_f64 v[21:22], v[35:36], -v[37:38]
	v_fma_f64 v[37:38], v[54:55], 2.0, -v[39:40]
	v_fma_f64 v[52:53], v[23:24], v[9:10], v[11:12]
	v_add_f64 v[17:18], v[33:34], -v[17:18]
	v_add_f64 v[54:55], v[41:42], -v[13:14]
	ds_write2_b64 v47, v[29:30], v[25:26] offset1:2
	ds_write2_b64 v96, v[37:38], v[39:40] offset1:2
	v_add_f64 v[25:26], v[43:44], -v[56:57]
	v_add_f64 v[37:38], v[64:65], -v[31:32]
	v_add_f64 v[39:40], v[66:67], -v[45:46]
	v_fma_f64 v[9:10], v[60:61], 2.0, -v[15:16]
	v_add_f64 v[45:46], v[68:69], -v[58:59]
	v_add_f64 v[52:53], v[70:71], -v[52:53]
	v_fma_f64 v[11:12], v[62:63], 2.0, -v[19:20]
	v_fma_f64 v[13:14], v[33:34], 2.0, -v[17:18]
	;; [unrolled: 1-line block ×6, first 2 shown]
	v_lshl_add_u32 v77, v95, 3, 0
	v_fma_f64 v[58:59], v[66:67], 2.0, -v[39:40]
	ds_write2_b64 v77, v[9:10], v[15:16] offset1:2
	v_and_or_b32 v9, v7, s4, v27
	v_fma_f64 v[60:61], v[68:69], 2.0, -v[45:46]
	v_lshl_add_u32 v78, v9, 3, 0
	v_and_or_b32 v9, v6, s0, v27
	s_movk_i32 s0, 0x2fc
	v_fma_f64 v[62:63], v[70:71], 2.0, -v[52:53]
	v_lshl_add_u32 v79, v9, 3, 0
	v_and_or_b32 v9, v8, s0, v27
	v_lshl_add_u32 v27, v9, 3, 0
	ds_write2_b64 v78, v[11:12], v[19:20] offset1:2
	ds_write2_b64 v79, v[13:14], v[17:18] offset1:2
	;; [unrolled: 1-line block ×3, first 2 shown]
	s_waitcnt lgkmcnt(0)
	; wave barrier
	s_waitcnt lgkmcnt(0)
	ds_read2_b64 v[9:12], v74 offset1:56
	ds_read2_b64 v[13:16], v75 offset0:80 offset1:136
	ds_read2_b64 v[17:20], v74 offset0:112 offset1:168
	;; [unrolled: 1-line block ×5, first 2 shown]
	s_waitcnt lgkmcnt(0)
	; wave barrier
	s_waitcnt lgkmcnt(0)
	ds_write2_b64 v47, v[41:42], v[54:55] offset1:2
	ds_write2_b64 v96, v[43:44], v[25:26] offset1:2
	;; [unrolled: 1-line block ×6, first 2 shown]
	v_and_b32_e32 v25, 3, v72
	v_lshlrev_b32_e32 v26, 4, v25
	s_waitcnt lgkmcnt(0)
	; wave barrier
	s_waitcnt lgkmcnt(0)
	global_load_dwordx4 v[37:40], v26, s[8:9] offset:32
	s_movk_i32 s0, 0x78
	s_movk_i32 s4, 0x1f8
	v_and_or_b32 v26, v2, s0, v25
	v_lshl_add_u32 v27, v26, 3, 0
	v_and_or_b32 v26, v3, s1, v25
	v_and_or_b32 v41, v5, s4, v25
	v_and_or_b32 v42, v7, s4, v25
	v_and_or_b32 v43, v6, s5, v25
	v_and_or_b32 v25, v8, s6, v25
	v_lshl_add_u32 v47, v26, 3, 0
	v_lshl_add_u32 v95, v41, 3, 0
	;; [unrolled: 1-line block ×5, first 2 shown]
	ds_read2_b64 v[41:44], v75 offset0:80 offset1:136
	ds_read2_b64 v[52:55], v75 offset0:192 offset1:248
	;; [unrolled: 1-line block ×3, first 2 shown]
	ds_read2_b64 v[60:63], v74 offset1:56
	ds_read2_b64 v[64:67], v74 offset0:112 offset1:168
	ds_read2_b64 v[68:71], v76 offset0:96 offset1:152
	s_waitcnt lgkmcnt(0)
	; wave barrier
	s_waitcnt lgkmcnt(0)
	s_movk_i32 s0, 0x70
	s_movk_i32 s1, 0xf0
	;; [unrolled: 1-line block ×5, first 2 shown]
	s_waitcnt vmcnt(0)
	v_mul_f64 v[25:26], v[41:42], v[39:40]
	v_mul_f64 v[77:78], v[13:14], v[39:40]
	v_mul_f64 v[45:46], v[43:44], v[39:40]
	v_mul_f64 v[79:80], v[15:16], v[39:40]
	v_mul_f64 v[81:82], v[52:53], v[39:40]
	v_mul_f64 v[85:86], v[21:22], v[39:40]
	v_mul_f64 v[83:84], v[54:55], v[39:40]
	v_mul_f64 v[87:88], v[23:24], v[39:40]
	v_mul_f64 v[89:90], v[56:57], v[39:40]
	v_mul_f64 v[93:94], v[33:34], v[39:40]
	v_mul_f64 v[91:92], v[58:59], v[39:40]
	v_mul_f64 v[39:40], v[35:36], v[39:40]
	v_fma_f64 v[13:14], v[13:14], v[37:38], -v[25:26]
	v_fma_f64 v[25:26], v[41:42], v[37:38], v[77:78]
	v_fma_f64 v[15:16], v[15:16], v[37:38], -v[45:46]
	v_fma_f64 v[41:42], v[43:44], v[37:38], v[79:80]
	;; [unrolled: 2-line block ×6, first 2 shown]
	v_add_f64 v[13:14], v[9:10], -v[13:14]
	v_add_f64 v[25:26], v[60:61], -v[25:26]
	;; [unrolled: 1-line block ×12, first 2 shown]
	v_fma_f64 v[9:10], v[9:10], 2.0, -v[13:14]
	v_fma_f64 v[52:53], v[60:61], 2.0, -v[25:26]
	;; [unrolled: 1-line block ×12, first 2 shown]
	ds_write2_b64 v27, v[9:10], v[13:14] offset1:4
	ds_write2_b64 v47, v[11:12], v[15:16] offset1:4
	;; [unrolled: 1-line block ×6, first 2 shown]
	s_waitcnt lgkmcnt(0)
	; wave barrier
	s_waitcnt lgkmcnt(0)
	ds_read2_b64 v[9:12], v74 offset1:56
	ds_read2_b64 v[13:16], v75 offset0:80 offset1:136
	ds_read2_b64 v[17:20], v74 offset0:112 offset1:168
	ds_read2_b64 v[21:24], v75 offset0:192 offset1:248
	ds_read2_b64 v[29:32], v76 offset0:96 offset1:152
	ds_read2_b64 v[33:36], v1 offset0:48 offset1:104
	s_waitcnt lgkmcnt(0)
	; wave barrier
	s_waitcnt lgkmcnt(0)
	ds_write2_b64 v27, v[52:53], v[25:26] offset1:4
	ds_write2_b64 v47, v[54:55], v[39:40] offset1:4
	;; [unrolled: 1-line block ×6, first 2 shown]
	v_and_b32_e32 v25, 7, v72
	v_lshlrev_b32_e32 v26, 4, v25
	s_waitcnt lgkmcnt(0)
	; wave barrier
	s_waitcnt lgkmcnt(0)
	global_load_dwordx4 v[37:40], v26, s[8:9] offset:96
	v_and_or_b32 v26, v2, s0, v25
	v_lshl_add_u32 v27, v26, 3, 0
	v_and_or_b32 v26, v3, s1, v25
	v_and_or_b32 v41, v5, s4, v25
	;; [unrolled: 1-line block ×5, first 2 shown]
	v_lshl_add_u32 v47, v26, 3, 0
	v_lshl_add_u32 v95, v41, 3, 0
	;; [unrolled: 1-line block ×5, first 2 shown]
	ds_read2_b64 v[41:44], v75 offset0:80 offset1:136
	ds_read2_b64 v[52:55], v75 offset0:192 offset1:248
	;; [unrolled: 1-line block ×3, first 2 shown]
	ds_read2_b64 v[60:63], v74 offset1:56
	ds_read2_b64 v[64:67], v74 offset0:112 offset1:168
	ds_read2_b64 v[68:71], v76 offset0:96 offset1:152
	s_waitcnt lgkmcnt(0)
	; wave barrier
	s_waitcnt lgkmcnt(0)
	s_movk_i32 s0, 0x60
	s_movk_i32 s1, 0xe0
	;; [unrolled: 1-line block ×5, first 2 shown]
	s_waitcnt vmcnt(0)
	v_mul_f64 v[25:26], v[41:42], v[39:40]
	v_mul_f64 v[77:78], v[13:14], v[39:40]
	;; [unrolled: 1-line block ×12, first 2 shown]
	v_fma_f64 v[13:14], v[13:14], v[37:38], -v[25:26]
	v_fma_f64 v[25:26], v[41:42], v[37:38], v[77:78]
	v_fma_f64 v[15:16], v[15:16], v[37:38], -v[45:46]
	v_fma_f64 v[41:42], v[43:44], v[37:38], v[79:80]
	;; [unrolled: 2-line block ×6, first 2 shown]
	v_add_f64 v[13:14], v[9:10], -v[13:14]
	v_add_f64 v[25:26], v[60:61], -v[25:26]
	;; [unrolled: 1-line block ×12, first 2 shown]
	v_fma_f64 v[9:10], v[9:10], 2.0, -v[13:14]
	v_fma_f64 v[52:53], v[60:61], 2.0, -v[25:26]
	;; [unrolled: 1-line block ×12, first 2 shown]
	ds_write2_b64 v27, v[9:10], v[13:14] offset1:8
	ds_write2_b64 v47, v[11:12], v[15:16] offset1:8
	;; [unrolled: 1-line block ×6, first 2 shown]
	s_waitcnt lgkmcnt(0)
	; wave barrier
	s_waitcnt lgkmcnt(0)
	ds_read2_b64 v[9:12], v74 offset1:56
	ds_read2_b64 v[13:16], v75 offset0:80 offset1:136
	ds_read2_b64 v[17:20], v74 offset0:112 offset1:168
	;; [unrolled: 1-line block ×5, first 2 shown]
	s_waitcnt lgkmcnt(0)
	; wave barrier
	s_waitcnt lgkmcnt(0)
	ds_write2_b64 v27, v[52:53], v[25:26] offset1:8
	ds_write2_b64 v47, v[54:55], v[39:40] offset1:8
	;; [unrolled: 1-line block ×6, first 2 shown]
	v_and_b32_e32 v27, 15, v72
	v_and_b32_e32 v47, 15, v28
	v_lshlrev_b32_e32 v25, 4, v27
	v_lshlrev_b32_e32 v26, 4, v47
	;; [unrolled: 1-line block ×3, first 2 shown]
	s_waitcnt lgkmcnt(0)
	; wave barrier
	s_waitcnt lgkmcnt(0)
	global_load_dwordx4 v[37:40], v25, s[8:9] offset:224
	global_load_dwordx4 v[41:44], v26, s[8:9] offset:224
	s_nop 0
	global_load_dwordx2 v[25:26], v45, s[8:9] offset:232
	global_load_dwordx4 v[52:55], v45, s[8:9] offset:224
	v_and_b32_e32 v56, 15, v73
	v_lshlrev_b32_e32 v45, 4, v56
	global_load_dwordx2 v[45:46], v45, s[8:9] offset:224
	v_and_or_b32 v2, v2, s0, v27
	v_lshl_add_u32 v95, v2, 3, 0
	v_and_or_b32 v2, v3, s1, v56
	v_and_or_b32 v3, v7, s4, v47
	;; [unrolled: 1-line block ×4, first 2 shown]
	v_lshl_add_u32 v47, v2, 3, 0
	v_lshl_add_u32 v96, v5, 3, 0
	;; [unrolled: 1-line block ×4, first 2 shown]
	ds_read2_b64 v[2:5], v75 offset0:192 offset1:248
	ds_read2_b64 v[56:59], v75 offset0:80 offset1:136
	;; [unrolled: 1-line block ×3, first 2 shown]
	ds_read2_b64 v[64:67], v74 offset1:56
	ds_read2_b64 v[68:71], v74 offset0:112 offset1:168
	ds_read2_b64 v[77:80], v76 offset0:96 offset1:152
	v_and_or_b32 v6, v6, s5, v27
	v_lshl_add_u32 v98, v6, 3, 0
	s_waitcnt lgkmcnt(0)
	; wave barrier
	s_waitcnt lgkmcnt(0)
	s_mov_b32 s4, 0xe8584caa
	s_mov_b32 s5, 0x3febb67a
	;; [unrolled: 1-line block ×3, first 2 shown]
	v_cmp_gt_u32_e64 s[0:1], 40, v72
	s_waitcnt vmcnt(4)
	v_mul_f64 v[85:86], v[56:57], v[39:40]
	v_mul_f64 v[6:7], v[2:3], v[39:40]
	s_waitcnt vmcnt(1)
	v_mul_f64 v[93:94], v[58:59], v[54:55]
	v_mul_f64 v[81:82], v[4:5], v[43:44]
	;; [unrolled: 1-line block ×6, first 2 shown]
	v_fma_f64 v[13:14], v[13:14], v[37:38], -v[85:86]
	v_mul_f64 v[43:44], v[23:24], v[43:44]
	v_mul_f64 v[39:40], v[33:34], v[39:40]
	;; [unrolled: 1-line block ×3, first 2 shown]
	s_waitcnt vmcnt(0)
	v_fma_f64 v[15:16], v[15:16], v[45:46], -v[93:94]
	v_fma_f64 v[6:7], v[21:22], v[37:38], -v[6:7]
	;; [unrolled: 1-line block ×4, first 2 shown]
	v_mul_f64 v[25:26], v[35:36], v[25:26]
	v_fma_f64 v[35:36], v[35:36], v[52:53], -v[91:92]
	v_fma_f64 v[2:3], v[2:3], v[37:38], v[83:84]
	v_fma_f64 v[23:24], v[56:57], v[37:38], v[87:88]
	v_add_f64 v[13:14], v[9:10], -v[13:14]
	v_fma_f64 v[4:5], v[4:5], v[41:42], v[43:44]
	v_fma_f64 v[37:38], v[60:61], v[37:38], v[39:40]
	;; [unrolled: 1-line block ×3, first 2 shown]
	v_add_f64 v[15:16], v[11:12], -v[15:16]
	v_add_f64 v[6:7], v[17:18], -v[6:7]
	;; [unrolled: 1-line block ×4, first 2 shown]
	v_fma_f64 v[25:26], v[62:63], v[52:53], v[25:26]
	v_add_f64 v[35:36], v[31:32], -v[35:36]
	v_add_f64 v[41:42], v[64:65], -v[23:24]
	;; [unrolled: 1-line block ×3, first 2 shown]
	v_fma_f64 v[2:3], v[9:10], 2.0, -v[13:14]
	v_add_f64 v[39:40], v[66:67], -v[39:40]
	v_add_f64 v[45:46], v[70:71], -v[4:5]
	v_fma_f64 v[4:5], v[11:12], 2.0, -v[15:16]
	v_fma_f64 v[8:9], v[17:18], 2.0, -v[6:7]
	;; [unrolled: 1-line block ×4, first 2 shown]
	v_add_f64 v[37:38], v[77:78], -v[37:38]
	v_fma_f64 v[19:20], v[31:32], 2.0, -v[35:36]
	v_add_f64 v[52:53], v[79:80], -v[25:26]
	ds_write2_b64 v95, v[2:3], v[13:14] offset1:16
	ds_write2_b64 v47, v[4:5], v[15:16] offset1:16
	;; [unrolled: 1-line block ×6, first 2 shown]
	v_fma_f64 v[10:11], v[64:65], 2.0, -v[41:42]
	v_fma_f64 v[12:13], v[66:67], 2.0, -v[39:40]
	;; [unrolled: 1-line block ×6, first 2 shown]
	s_waitcnt lgkmcnt(0)
	; wave barrier
	s_waitcnt lgkmcnt(0)
	ds_read2_b64 v[2:5], v74 offset1:56
	ds_read2_b64 v[6:9], v76 offset0:96 offset1:152
	ds_read2_b64 v[20:23], v75 offset0:192 offset1:248
	;; [unrolled: 1-line block ×5, first 2 shown]
	s_waitcnt lgkmcnt(0)
	; wave barrier
	s_waitcnt lgkmcnt(0)
	ds_write2_b64 v95, v[10:11], v[41:42] offset1:16
	ds_write2_b64 v47, v[12:13], v[39:40] offset1:16
	;; [unrolled: 1-line block ×6, first 2 shown]
	v_and_b32_e32 v10, 31, v72
	v_and_b32_e32 v12, 31, v73
	v_lshlrev_b32_e32 v11, 5, v10
	v_lshlrev_b32_e32 v13, 5, v12
	s_waitcnt lgkmcnt(0)
	; wave barrier
	s_waitcnt lgkmcnt(0)
	global_load_dwordx4 v[33:36], v11, s[8:9] offset:480
	global_load_dwordx4 v[37:40], v13, s[8:9] offset:480
	;; [unrolled: 1-line block ×4, first 2 shown]
	v_and_b32_e32 v11, 31, v0
	v_lshlrev_b32_e32 v13, 5, v11
	v_lshlrev_b32_e32 v14, 5, v120
	global_load_dwordx4 v[58:61], v13, s[8:9] offset:480
	global_load_dwordx4 v[84:87], v14, s[8:9] offset:480
	;; [unrolled: 1-line block ×4, first 2 shown]
	v_lshrrev_b32_e32 v13, 5, v72
	v_mul_u32_u24_e32 v13, 0x60, v13
	v_lshrrev_b32_e32 v14, 5, v73
	v_or_b32_e32 v10, v13, v10
	v_mul_u32_u24_e32 v13, 0x60, v14
	v_lshrrev_b32_e32 v0, 5, v0
	v_lshl_add_u32 v77, v10, 3, 0
	v_or_b32_e32 v10, v13, v12
	ds_read2_b64 v[92:95], v76 offset0:96 offset1:152
	ds_read2_b64 v[96:99], v75 offset0:192 offset1:248
	ds_read2_b64 v[100:103], v75 offset0:80 offset1:136
	ds_read2_b64 v[104:107], v1 offset0:48 offset1:104
	ds_read2_b64 v[16:19], v74 offset1:56
	ds_read2_b64 v[12:15], v74 offset0:112 offset1:168
	v_mul_u32_u24_e32 v0, 0x60, v0
	v_or_b32_e32 v0, v0, v11
	v_lshl_add_u32 v78, v10, 3, 0
	v_lshl_add_u32 v79, v0, 3, 0
	s_waitcnt lgkmcnt(0)
	; wave barrier
	s_waitcnt vmcnt(7) lgkmcnt(0)
	v_mul_f64 v[0:1], v[92:93], v[35:36]
	v_mul_f64 v[10:11], v[6:7], v[35:36]
	s_waitcnt vmcnt(6)
	v_mul_f64 v[35:36], v[94:95], v[39:40]
	v_mul_f64 v[39:40], v[8:9], v[39:40]
	s_waitcnt vmcnt(5)
	;; [unrolled: 3-line block ×3, first 2 shown]
	v_mul_f64 v[52:53], v[98:99], v[82:83]
	s_waitcnt vmcnt(3)
	v_mul_f64 v[108:109], v[100:101], v[60:61]
	s_waitcnt vmcnt(2)
	;; [unrolled: 2-line block ×3, first 2 shown]
	v_mul_f64 v[114:115], v[104:105], v[70:71]
	v_mul_f64 v[116:117], v[54:55], v[70:71]
	s_waitcnt vmcnt(0)
	v_mul_f64 v[118:119], v[106:107], v[90:91]
	v_mul_f64 v[82:83], v[22:23], v[82:83]
	;; [unrolled: 1-line block ×5, first 2 shown]
	v_fma_f64 v[64:65], v[6:7], v[33:34], -v[0:1]
	v_fma_f64 v[60:61], v[8:9], v[37:38], -v[35:36]
	v_fma_f64 v[62:63], v[94:95], v[37:38], v[39:40]
	v_fma_f64 v[70:71], v[20:21], v[41:42], -v[45:46]
	v_fma_f64 v[36:37], v[96:97], v[41:42], v[43:44]
	v_fma_f64 v[42:43], v[29:30], v[58:59], -v[108:109]
	v_fma_f64 v[46:47], v[54:55], v[68:69], -v[114:115]
	v_fma_f64 v[20:21], v[104:105], v[68:69], v[116:117]
	v_fma_f64 v[68:69], v[22:23], v[80:81], -v[52:53]
	v_fma_f64 v[40:41], v[31:32], v[84:85], -v[112:113]
	;; [unrolled: 1-line block ×3, first 2 shown]
	v_fma_f64 v[66:67], v[92:93], v[33:34], v[10:11]
	v_fma_f64 v[58:59], v[100:101], v[58:59], v[110:111]
	v_fma_f64 v[38:39], v[98:99], v[80:81], v[82:83]
	v_fma_f64 v[54:55], v[102:103], v[84:85], v[86:87]
	v_fma_f64 v[22:23], v[106:107], v[88:89], v[90:91]
	v_add_f64 v[0:1], v[42:43], v[46:47]
	v_add_f64 v[8:9], v[2:3], v[64:65]
	;; [unrolled: 1-line block ×5, first 2 shown]
	v_add_f64 v[6:7], v[58:59], -v[20:21]
	v_add_f64 v[29:30], v[66:67], -v[36:37]
	v_add_f64 v[33:34], v[4:5], v[60:61]
	v_add_f64 v[52:53], v[62:63], -v[38:39]
	v_add_f64 v[80:81], v[24:25], v[42:43]
	v_add_f64 v[82:83], v[26:27], v[40:41]
	v_add_f64 v[84:85], v[54:55], -v[22:23]
	v_fma_f64 v[2:3], v[10:11], -0.5, v[2:3]
	v_fma_f64 v[10:11], v[0:1], -0.5, v[24:25]
	;; [unrolled: 1-line block ×3, first 2 shown]
	v_add_f64 v[24:25], v[8:9], v[70:71]
	v_fma_f64 v[8:9], v[56:57], -0.5, v[26:27]
	v_add_f64 v[31:32], v[33:34], v[68:69]
	v_add_f64 v[4:5], v[82:83], v[44:45]
	;; [unrolled: 1-line block ×3, first 2 shown]
	v_fma_f64 v[33:34], v[29:30], s[4:5], v[2:3]
	v_fma_f64 v[29:30], v[29:30], s[6:7], v[2:3]
	;; [unrolled: 1-line block ×8, first 2 shown]
	v_lshrrev_b32_e32 v10, 5, v28
	v_mul_u32_u24_e32 v10, 0x60, v10
	v_or_b32_e32 v10, v10, v120
	v_lshl_add_u32 v80, v10, 3, 0
	ds_write2_b64 v77, v[24:25], v[33:34] offset1:32
	ds_write_b64 v77, v[29:30] offset:512
	ds_write2_b64 v78, v[31:32], v[56:57] offset1:32
	ds_write_b64 v78, v[52:53] offset:512
	;; [unrolled: 2-line block ×4, first 2 shown]
	s_waitcnt lgkmcnt(0)
	; wave barrier
	s_waitcnt lgkmcnt(0)
	ds_read_b64 v[56:57], v74 offset:4608
	ds_read2_b64 v[24:27], v74 offset1:96
	ds_read2_b64 v[28:31], v76 offset0:64 offset1:160
	ds_read2_b64 v[32:35], v75 offset0:128 offset1:224
                                        ; implicit-def: $vgpr52_vgpr53
	s_and_saveexec_b64 s[10:11], s[0:1]
	s_cbranch_execz .LBB0_15
; %bb.14:
	v_add_u32_e32 v8, 0xc00, v74
	ds_read2_b64 v[0:3], v74 offset0:56 offset1:152
	ds_read2_b64 v[4:7], v76 offset0:120 offset1:216
	;; [unrolled: 1-line block ×3, first 2 shown]
	ds_read_b64 v[52:53], v74 offset:5056
.LBB0_15:
	s_or_b64 exec, exec, s[10:11]
	v_add_f64 v[81:82], v[66:67], v[36:37]
	v_add_f64 v[64:65], v[64:65], -v[70:71]
	v_add_f64 v[70:71], v[18:19], v[62:63]
	v_add_f64 v[62:63], v[62:63], v[38:39]
	v_add_f64 v[60:61], v[60:61], -v[68:69]
	v_add_f64 v[68:69], v[58:59], v[20:21]
	v_add_f64 v[66:67], v[16:17], v[66:67]
	;; [unrolled: 1-line block ×3, first 2 shown]
	v_fma_f64 v[16:17], v[81:82], -0.5, v[16:17]
	v_add_f64 v[81:82], v[54:55], v[22:23]
	v_add_f64 v[42:43], v[42:43], -v[46:47]
	v_fma_f64 v[18:19], v[62:63], -0.5, v[18:19]
	v_add_f64 v[46:47], v[14:15], v[54:55]
	v_fma_f64 v[54:55], v[68:69], -0.5, v[12:13]
	v_add_f64 v[36:37], v[66:67], v[36:37]
	v_add_f64 v[40:41], v[40:41], -v[44:45]
	v_fma_f64 v[62:63], v[64:65], s[6:7], v[16:17]
	v_fma_f64 v[66:67], v[81:82], -0.5, v[14:15]
	v_fma_f64 v[64:65], v[64:65], s[4:5], v[16:17]
	v_add_f64 v[38:39], v[70:71], v[38:39]
	v_fma_f64 v[44:45], v[60:61], s[6:7], v[18:19]
	v_fma_f64 v[60:61], v[60:61], s[4:5], v[18:19]
	v_add_f64 v[58:59], v[58:59], v[20:21]
	v_fma_f64 v[12:13], v[42:43], s[6:7], v[54:55]
	;; [unrolled: 3-line block ×3, first 2 shown]
	v_fma_f64 v[20:21], v[40:41], s[4:5], v[66:67]
	s_waitcnt lgkmcnt(0)
	; wave barrier
	s_waitcnt lgkmcnt(0)
	ds_write2_b64 v77, v[36:37], v[62:63] offset1:32
	ds_write_b64 v77, v[64:65] offset:512
	ds_write2_b64 v78, v[38:39], v[44:45] offset1:32
	ds_write_b64 v78, v[60:61] offset:512
	;; [unrolled: 2-line block ×4, first 2 shown]
	s_waitcnt lgkmcnt(0)
	; wave barrier
	s_waitcnt lgkmcnt(0)
	ds_read2_b64 v[36:39], v74 offset1:96
	ds_read2_b64 v[40:43], v76 offset0:64 offset1:160
	ds_read2_b64 v[44:47], v75 offset0:128 offset1:224
	ds_read_b64 v[58:59], v74 offset:4608
                                        ; implicit-def: $vgpr54_vgpr55
	s_and_saveexec_b64 s[4:5], s[0:1]
	s_cbranch_execz .LBB0_17
; %bb.16:
	v_add_u32_e32 v16, 0x400, v74
	v_add_u32_e32 v20, 0xc00, v74
	ds_read2_b64 v[12:15], v74 offset0:56 offset1:152
	ds_read2_b64 v[16:19], v16 offset0:120 offset1:216
	;; [unrolled: 1-line block ×3, first 2 shown]
	ds_read_b64 v[54:55], v74 offset:5056
.LBB0_17:
	s_or_b64 exec, exec, s[4:5]
	s_and_saveexec_b64 s[4:5], vcc
	s_cbranch_execz .LBB0_20
; %bb.18:
	v_mul_u32_u24_e32 v60, 6, v72
	v_lshlrev_b32_e32 v86, 4, v60
	global_load_dwordx4 v[60:63], v86, s[8:9] offset:1504
	global_load_dwordx4 v[64:67], v86, s[8:9] offset:1584
	;; [unrolled: 1-line block ×6, first 2 shown]
	v_mul_lo_u32 v86, s3, v50
	v_mul_lo_u32 v87, s2, v51
	v_mad_u64_u32 v[50:51], s[2:3], s2, v50, 0
	s_mov_b32 s26, 0xaaaaaaab
	v_mul_hi_u32 v99, v72, s26
	v_add3_u32 v51, v51, v87, v86
	s_movk_i32 s27, 0x60
	s_mov_b32 s6, 0xe976ee23
	s_mov_b32 s16, 0x37e14327
	;; [unrolled: 1-line block ×20, first 2 shown]
	v_lshlrev_b64 v[50:51], 4, v[50:51]
	v_mov_b32_e32 v98, s15
	s_waitcnt vmcnt(5) lgkmcnt(3)
	v_mul_f64 v[86:87], v[38:39], v[62:63]
	s_waitcnt vmcnt(4) lgkmcnt(0)
	v_mul_f64 v[88:89], v[58:59], v[66:67]
	s_waitcnt vmcnt(3)
	v_mul_f64 v[90:91], v[44:45], v[70:71]
	s_waitcnt vmcnt(2)
	v_mul_f64 v[92:93], v[42:43], v[76:77]
	s_waitcnt vmcnt(1)
	v_mul_f64 v[94:95], v[40:41], v[80:81]
	s_waitcnt vmcnt(0)
	v_mul_f64 v[96:97], v[46:47], v[84:85]
	v_mul_f64 v[66:67], v[56:57], v[66:67]
	;; [unrolled: 1-line block ×7, first 2 shown]
	v_fma_f64 v[26:27], v[26:27], v[60:61], -v[86:87]
	v_fma_f64 v[56:57], v[56:57], v[64:65], -v[88:89]
	;; [unrolled: 1-line block ×6, first 2 shown]
	v_fma_f64 v[58:59], v[58:59], v[64:65], v[66:67]
	v_fma_f64 v[38:39], v[38:39], v[60:61], v[62:63]
	;; [unrolled: 1-line block ×4, first 2 shown]
	v_lshrrev_b32_e32 v60, 6, v99
	v_fma_f64 v[42:43], v[42:43], v[74:75], v[76:77]
	v_fma_f64 v[44:45], v[44:45], v[68:69], v[70:71]
	v_mul_lo_u32 v84, v60, s27
	v_add_f64 v[60:61], v[26:27], -v[56:57]
	v_add_f64 v[62:63], v[32:33], -v[30:31]
	;; [unrolled: 1-line block ×3, first 2 shown]
	v_add_f64 v[66:67], v[38:39], v[58:59]
	v_add_f64 v[68:69], v[40:41], v[46:47]
	;; [unrolled: 1-line block ×6, first 2 shown]
	v_add_f64 v[32:33], v[38:39], -v[58:59]
	v_add_f64 v[34:35], v[44:45], -v[42:43]
	v_add_f64 v[38:39], v[40:41], -v[46:47]
	v_add_f64 v[40:41], v[60:61], -v[62:63]
	v_add_f64 v[42:43], v[62:63], -v[64:65]
	v_add_f64 v[44:45], v[62:63], v[64:65]
	v_add_f64 v[46:47], v[66:67], v[68:69]
	;; [unrolled: 1-line block ×3, first 2 shown]
	v_add_f64 v[56:57], v[66:67], -v[70:71]
	v_add_f64 v[58:59], v[70:71], -v[68:69]
	;; [unrolled: 1-line block ×6, first 2 shown]
	v_add_f64 v[34:35], v[34:35], v[38:39]
	v_add_f64 v[64:65], v[64:65], -v[60:61]
	v_add_f64 v[38:39], v[38:39], -v[32:33]
	v_add_f64 v[46:47], v[70:71], v[46:47]
	v_add_f64 v[62:63], v[30:31], v[62:63]
	v_add_f64 v[66:67], v[68:69], -v[66:67]
	v_add_f64 v[26:27], v[28:29], -v[26:27]
	v_mul_f64 v[42:43], v[42:43], s[6:7]
	v_add_f64 v[44:45], v[60:61], v[44:45]
	v_mul_f64 v[60:61], v[56:57], s[16:17]
	v_mul_f64 v[58:59], v[58:59], s[12:13]
	;; [unrolled: 1-line block ×5, first 2 shown]
	v_add_f64 v[32:33], v[32:33], v[34:35]
	v_mul_f64 v[34:35], v[64:65], s[18:19]
	v_mul_f64 v[80:81], v[38:39], s[18:19]
	v_add_f64 v[30:31], v[36:37], v[46:47]
	v_add_f64 v[28:29], v[24:25], v[62:63]
	v_fma_f64 v[82:83], v[40:41], s[4:5], v[42:43]
	v_fma_f64 v[36:37], v[56:57], s[16:17], v[58:59]
	;; [unrolled: 1-line block ×4, first 2 shown]
	v_fma_f64 v[34:35], v[40:41], s[20:21], -v[34:35]
	v_fma_f64 v[40:41], v[66:67], s[22:23], -v[60:61]
	;; [unrolled: 1-line block ×4, first 2 shown]
	v_fma_f64 v[46:47], v[46:47], s[10:11], v[30:31]
	v_fma_f64 v[62:63], v[62:63], s[10:11], v[28:29]
	v_fma_f64 v[58:59], v[66:67], s[24:25], -v[58:59]
	v_fma_f64 v[42:43], v[64:65], s[18:19], -v[42:43]
	v_fma_f64 v[26:27], v[26:27], s[24:25], -v[70:71]
	v_fma_f64 v[38:39], v[38:39], s[18:19], -v[76:77]
	v_fma_f64 v[64:65], v[44:45], s[2:3], v[82:83]
	v_fma_f64 v[66:67], v[32:33], s[2:3], v[56:57]
	v_fma_f64 v[56:57], v[44:45], s[2:3], v[34:35]
	v_fma_f64 v[68:69], v[32:33], s[2:3], v[68:69]
	v_add_f64 v[74:75], v[36:37], v[46:47]
	v_add_f64 v[24:25], v[24:25], v[62:63]
	;; [unrolled: 1-line block ×4, first 2 shown]
	v_fma_f64 v[44:45], v[44:45], s[2:3], v[42:43]
	v_fma_f64 v[70:71], v[32:33], s[2:3], v[38:39]
	v_add_f64 v[46:47], v[58:59], v[46:47]
	v_add_f64 v[26:27], v[26:27], v[62:63]
	v_add_f64 v[62:63], v[74:75], -v[64:65]
	v_add_f64 v[32:33], v[24:25], -v[66:67]
	v_add_f64 v[38:39], v[56:57], v[76:77]
	v_add_f64 v[36:37], v[60:61], -v[68:69]
	v_add_f64 v[58:59], v[76:77], -v[56:57]
	v_add_f64 v[56:57], v[68:69], v[60:61]
	v_add_f64 v[60:61], v[66:67], v[24:25]
	v_add_f64 v[42:43], v[46:47], -v[44:45]
	v_add_f64 v[40:41], v[70:71], v[26:27]
	v_add_f64 v[46:47], v[44:45], v[46:47]
	v_add_f64 v[44:45], v[26:27], -v[70:71]
	v_add_co_u32_e32 v26, vcc, s14, v50
	v_lshlrev_b64 v[24:25], 4, v[48:49]
	v_addc_co_u32_e32 v27, vcc, v98, v51, vcc
	v_sub_u32_e32 v78, v72, v84
	v_add_co_u32_e32 v26, vcc, v26, v24
	v_addc_co_u32_e32 v27, vcc, v27, v25, vcc
	v_lshlrev_b32_e32 v48, 4, v78
	v_add_f64 v[34:35], v[64:65], v[74:75]
	v_add_co_u32_e32 v24, vcc, v26, v48
	v_addc_co_u32_e32 v25, vcc, 0, v27, vcc
	s_movk_i32 s14, 0x1000
	global_store_dwordx4 v[24:25], v[28:31], off
	global_store_dwordx4 v[24:25], v[60:63], off offset:1536
	global_store_dwordx4 v[24:25], v[56:59], off offset:3072
	v_add_co_u32_e32 v28, vcc, s14, v24
	v_addc_co_u32_e32 v29, vcc, 0, v25, vcc
	v_or_b32_e32 v30, 0x1800, v48
	v_add_co_u32_e32 v30, vcc, v26, v30
	v_addc_co_u32_e32 v31, vcc, 0, v27, vcc
	v_add_co_u32_e32 v24, vcc, 0x2000, v24
	v_addc_co_u32_e32 v25, vcc, 0, v25, vcc
	global_store_dwordx4 v[28:29], v[44:47], off offset:512
	global_store_dwordx4 v[30:31], v[40:43], off
	global_store_dwordx4 v[28:29], v[36:39], off offset:3584
	global_store_dwordx4 v[24:25], v[32:35], off offset:1024
	v_add_u32_e32 v24, 56, v72
	v_cmp_gt_u32_e32 vcc, s27, v24
	s_and_b64 exec, exec, vcc
	s_cbranch_execz .LBB0_20
; %bb.19:
	v_subrev_u32_e32 v25, 40, v72
	v_cndmask_b32_e64 v25, v25, v73, s[0:1]
	v_mul_i32_i24_e32 v56, 6, v25
	v_mov_b32_e32 v57, 0
	v_lshlrev_b64 v[28:29], 4, v[56:57]
	v_mov_b32_e32 v25, s9
	v_add_co_u32_e32 v58, vcc, s8, v28
	v_addc_co_u32_e32 v59, vcc, v25, v29, vcc
	global_load_dwordx4 v[28:31], v[58:59], off offset:1504
	global_load_dwordx4 v[32:35], v[58:59], off offset:1520
	;; [unrolled: 1-line block ×6, first 2 shown]
	v_mov_b32_e32 v25, v57
	v_lshlrev_b64 v[24:25], 4, v[24:25]
	v_add_u32_e32 v56, 0x98, v72
	v_add_co_u32_e32 v24, vcc, v26, v24
	v_lshlrev_b64 v[58:59], 4, v[56:57]
	v_addc_co_u32_e32 v25, vcc, v27, v25, vcc
	v_add_u32_e32 v56, 0xf8, v72
	v_lshlrev_b64 v[60:61], 4, v[56:57]
	v_add_co_u32_e32 v58, vcc, v26, v58
	v_add_u32_e32 v56, 0x158, v72
	v_addc_co_u32_e32 v59, vcc, v27, v59, vcc
	v_lshlrev_b64 v[62:63], 4, v[56:57]
	v_add_co_u32_e32 v60, vcc, v26, v60
	v_add_u32_e32 v56, 0x1b8, v72
	v_addc_co_u32_e32 v61, vcc, v27, v61, vcc
	;; [unrolled: 4-line block ×3, first 2 shown]
	v_lshlrev_b64 v[66:67], 4, v[56:57]
	v_add_u32_e32 v56, 0x278, v72
	s_waitcnt vmcnt(5)
	v_mul_f64 v[68:69], v[14:15], v[30:31]
	v_mul_f64 v[30:31], v[2:3], v[30:31]
	s_waitcnt vmcnt(4)
	v_mul_f64 v[70:71], v[16:17], v[34:35]
	v_mul_f64 v[34:35], v[4:5], v[34:35]
	;; [unrolled: 3-line block ×4, first 2 shown]
	v_mul_f64 v[73:74], v[18:19], v[38:39]
	v_mul_f64 v[38:39], v[6:7], v[38:39]
	;; [unrolled: 1-line block ×4, first 2 shown]
	v_fma_f64 v[2:3], v[2:3], v[28:29], -v[68:69]
	v_fma_f64 v[14:15], v[14:15], v[28:29], v[30:31]
	v_fma_f64 v[4:5], v[4:5], v[32:33], -v[70:71]
	v_fma_f64 v[16:17], v[16:17], v[32:33], v[34:35]
	;; [unrolled: 2-line block ×6, first 2 shown]
	v_add_f64 v[32:33], v[2:3], v[28:29]
	v_add_f64 v[34:35], v[14:15], v[30:31]
	v_add_f64 v[2:3], v[2:3], -v[28:29]
	v_add_f64 v[14:15], v[14:15], -v[30:31]
	v_add_f64 v[28:29], v[4:5], v[10:11]
	v_add_f64 v[30:31], v[16:17], v[22:23]
	v_add_f64 v[4:5], v[4:5], -v[10:11]
	v_add_f64 v[10:11], v[16:17], -v[22:23]
	v_add_f64 v[16:17], v[6:7], v[8:9]
	v_add_f64 v[22:23], v[18:19], v[20:21]
	v_add_f64 v[6:7], v[8:9], -v[6:7]
	v_add_f64 v[8:9], v[20:21], -v[18:19]
	v_add_f64 v[18:19], v[28:29], v[32:33]
	v_add_f64 v[20:21], v[30:31], v[34:35]
	v_add_f64 v[36:37], v[28:29], -v[32:33]
	v_add_f64 v[38:39], v[30:31], -v[34:35]
	v_add_f64 v[32:33], v[32:33], -v[16:17]
	v_add_f64 v[34:35], v[34:35], -v[22:23]
	;; [unrolled: 1-line block ×4, first 2 shown]
	v_add_f64 v[40:41], v[6:7], v[4:5]
	v_add_f64 v[42:43], v[8:9], v[10:11]
	v_add_f64 v[44:45], v[6:7], -v[4:5]
	v_add_f64 v[46:47], v[8:9], -v[10:11]
	v_add_f64 v[16:17], v[16:17], v[18:19]
	v_add_f64 v[18:19], v[22:23], v[20:21]
	v_add_f64 v[4:5], v[4:5], -v[2:3]
	v_add_f64 v[10:11], v[10:11], -v[14:15]
	;; [unrolled: 1-line block ×4, first 2 shown]
	v_add_f64 v[20:21], v[40:41], v[2:3]
	v_add_f64 v[14:15], v[42:43], v[14:15]
	v_mul_f64 v[22:23], v[32:33], s[16:17]
	v_mul_f64 v[32:33], v[34:35], s[16:17]
	;; [unrolled: 1-line block ×6, first 2 shown]
	v_add_f64 v[0:1], v[0:1], v[16:17]
	v_add_f64 v[2:3], v[12:13], v[18:19]
	v_mul_f64 v[46:47], v[4:5], s[18:19]
	v_mul_f64 v[48:49], v[10:11], s[18:19]
	v_fma_f64 v[12:13], v[28:29], s[12:13], v[22:23]
	v_fma_f64 v[28:29], v[30:31], s[12:13], v[32:33]
	v_fma_f64 v[30:31], v[36:37], s[24:25], -v[34:35]
	v_fma_f64 v[34:35], v[38:39], s[24:25], -v[40:41]
	;; [unrolled: 1-line block ×4, first 2 shown]
	v_fma_f64 v[36:37], v[6:7], s[4:5], v[42:43]
	v_fma_f64 v[38:39], v[8:9], s[4:5], v[44:45]
	;; [unrolled: 1-line block ×4, first 2 shown]
	v_fma_f64 v[4:5], v[4:5], s[18:19], -v[42:43]
	v_fma_f64 v[10:11], v[10:11], s[18:19], -v[44:45]
	;; [unrolled: 1-line block ×4, first 2 shown]
	v_fma_f64 v[36:37], v[20:21], s[2:3], v[36:37]
	v_fma_f64 v[38:39], v[14:15], s[2:3], v[38:39]
	v_add_f64 v[46:47], v[12:13], v[16:17]
	v_add_f64 v[28:29], v[28:29], v[18:19]
	v_fma_f64 v[40:41], v[20:21], s[2:3], v[4:5]
	v_fma_f64 v[42:43], v[14:15], s[2:3], v[10:11]
	;; [unrolled: 1-line block ×4, first 2 shown]
	v_add_f64 v[12:13], v[30:31], v[16:17]
	v_add_f64 v[14:15], v[34:35], v[18:19]
	;; [unrolled: 1-line block ×4, first 2 shown]
	global_store_dwordx4 v[24:25], v[0:3], off
	v_add_co_u32_e32 v30, vcc, v26, v64
	v_add_f64 v[0:1], v[38:39], v[46:47]
	v_add_f64 v[2:3], v[28:29], -v[36:37]
	v_add_f64 v[8:9], v[12:13], -v[42:43]
	v_add_f64 v[4:5], v[44:45], v[16:17]
	v_add_f64 v[6:7], v[18:19], -v[20:21]
	v_add_f64 v[10:11], v[40:41], v[14:15]
	;; [unrolled: 2-line block ×3, first 2 shown]
	v_add_f64 v[12:13], v[42:43], v[12:13]
	v_add_f64 v[14:15], v[14:15], -v[40:41]
	v_add_f64 v[20:21], v[46:47], -v[38:39]
	v_add_f64 v[22:23], v[36:37], v[28:29]
	v_addc_co_u32_e32 v31, vcc, v27, v65, vcc
	global_store_dwordx4 v[58:59], v[0:3], off
	global_store_dwordx4 v[60:61], v[4:7], off
	;; [unrolled: 1-line block ×4, first 2 shown]
	v_add_co_u32_e32 v0, vcc, v26, v66
	v_addc_co_u32_e32 v1, vcc, v27, v67, vcc
	global_store_dwordx4 v[0:1], v[16:19], off
	v_lshlrev_b64 v[0:1], 4, v[56:57]
	v_add_co_u32_e32 v0, vcc, v26, v0
	v_addc_co_u32_e32 v1, vcc, v27, v1, vcc
	global_store_dwordx4 v[0:1], v[20:23], off
.LBB0_20:
	s_endpgm
	.section	.rodata,"a",@progbits
	.p2align	6, 0x0
	.amdhsa_kernel fft_rtc_fwd_len672_factors_2_2_2_2_2_3_7_wgs_56_tpt_56_halfLds_dp_op_CI_CI_unitstride_sbrr_dirReg
		.amdhsa_group_segment_fixed_size 0
		.amdhsa_private_segment_fixed_size 0
		.amdhsa_kernarg_size 104
		.amdhsa_user_sgpr_count 6
		.amdhsa_user_sgpr_private_segment_buffer 1
		.amdhsa_user_sgpr_dispatch_ptr 0
		.amdhsa_user_sgpr_queue_ptr 0
		.amdhsa_user_sgpr_kernarg_segment_ptr 1
		.amdhsa_user_sgpr_dispatch_id 0
		.amdhsa_user_sgpr_flat_scratch_init 0
		.amdhsa_user_sgpr_private_segment_size 0
		.amdhsa_uses_dynamic_stack 0
		.amdhsa_system_sgpr_private_segment_wavefront_offset 0
		.amdhsa_system_sgpr_workgroup_id_x 1
		.amdhsa_system_sgpr_workgroup_id_y 0
		.amdhsa_system_sgpr_workgroup_id_z 0
		.amdhsa_system_sgpr_workgroup_info 0
		.amdhsa_system_vgpr_workitem_id 0
		.amdhsa_next_free_vgpr 121
		.amdhsa_next_free_sgpr 28
		.amdhsa_reserve_vcc 1
		.amdhsa_reserve_flat_scratch 0
		.amdhsa_float_round_mode_32 0
		.amdhsa_float_round_mode_16_64 0
		.amdhsa_float_denorm_mode_32 3
		.amdhsa_float_denorm_mode_16_64 3
		.amdhsa_dx10_clamp 1
		.amdhsa_ieee_mode 1
		.amdhsa_fp16_overflow 0
		.amdhsa_exception_fp_ieee_invalid_op 0
		.amdhsa_exception_fp_denorm_src 0
		.amdhsa_exception_fp_ieee_div_zero 0
		.amdhsa_exception_fp_ieee_overflow 0
		.amdhsa_exception_fp_ieee_underflow 0
		.amdhsa_exception_fp_ieee_inexact 0
		.amdhsa_exception_int_div_zero 0
	.end_amdhsa_kernel
	.text
.Lfunc_end0:
	.size	fft_rtc_fwd_len672_factors_2_2_2_2_2_3_7_wgs_56_tpt_56_halfLds_dp_op_CI_CI_unitstride_sbrr_dirReg, .Lfunc_end0-fft_rtc_fwd_len672_factors_2_2_2_2_2_3_7_wgs_56_tpt_56_halfLds_dp_op_CI_CI_unitstride_sbrr_dirReg
                                        ; -- End function
	.section	.AMDGPU.csdata,"",@progbits
; Kernel info:
; codeLenInByte = 8848
; NumSgprs: 32
; NumVgprs: 121
; ScratchSize: 0
; MemoryBound: 1
; FloatMode: 240
; IeeeMode: 1
; LDSByteSize: 0 bytes/workgroup (compile time only)
; SGPRBlocks: 3
; VGPRBlocks: 30
; NumSGPRsForWavesPerEU: 32
; NumVGPRsForWavesPerEU: 121
; Occupancy: 2
; WaveLimiterHint : 1
; COMPUTE_PGM_RSRC2:SCRATCH_EN: 0
; COMPUTE_PGM_RSRC2:USER_SGPR: 6
; COMPUTE_PGM_RSRC2:TRAP_HANDLER: 0
; COMPUTE_PGM_RSRC2:TGID_X_EN: 1
; COMPUTE_PGM_RSRC2:TGID_Y_EN: 0
; COMPUTE_PGM_RSRC2:TGID_Z_EN: 0
; COMPUTE_PGM_RSRC2:TIDIG_COMP_CNT: 0
	.type	__hip_cuid_21423acb5ed4968,@object ; @__hip_cuid_21423acb5ed4968
	.section	.bss,"aw",@nobits
	.globl	__hip_cuid_21423acb5ed4968
__hip_cuid_21423acb5ed4968:
	.byte	0                               ; 0x0
	.size	__hip_cuid_21423acb5ed4968, 1

	.ident	"AMD clang version 19.0.0git (https://github.com/RadeonOpenCompute/llvm-project roc-6.4.0 25133 c7fe45cf4b819c5991fe208aaa96edf142730f1d)"
	.section	".note.GNU-stack","",@progbits
	.addrsig
	.addrsig_sym __hip_cuid_21423acb5ed4968
	.amdgpu_metadata
---
amdhsa.kernels:
  - .args:
      - .actual_access:  read_only
        .address_space:  global
        .offset:         0
        .size:           8
        .value_kind:     global_buffer
      - .offset:         8
        .size:           8
        .value_kind:     by_value
      - .actual_access:  read_only
        .address_space:  global
        .offset:         16
        .size:           8
        .value_kind:     global_buffer
      - .actual_access:  read_only
        .address_space:  global
        .offset:         24
        .size:           8
        .value_kind:     global_buffer
      - .actual_access:  read_only
        .address_space:  global
        .offset:         32
        .size:           8
        .value_kind:     global_buffer
      - .offset:         40
        .size:           8
        .value_kind:     by_value
      - .actual_access:  read_only
        .address_space:  global
        .offset:         48
        .size:           8
        .value_kind:     global_buffer
      - .actual_access:  read_only
        .address_space:  global
        .offset:         56
        .size:           8
        .value_kind:     global_buffer
      - .offset:         64
        .size:           4
        .value_kind:     by_value
      - .actual_access:  read_only
        .address_space:  global
        .offset:         72
        .size:           8
        .value_kind:     global_buffer
      - .actual_access:  read_only
        .address_space:  global
        .offset:         80
        .size:           8
        .value_kind:     global_buffer
      - .actual_access:  read_only
        .address_space:  global
        .offset:         88
        .size:           8
        .value_kind:     global_buffer
      - .actual_access:  write_only
        .address_space:  global
        .offset:         96
        .size:           8
        .value_kind:     global_buffer
    .group_segment_fixed_size: 0
    .kernarg_segment_align: 8
    .kernarg_segment_size: 104
    .language:       OpenCL C
    .language_version:
      - 2
      - 0
    .max_flat_workgroup_size: 56
    .name:           fft_rtc_fwd_len672_factors_2_2_2_2_2_3_7_wgs_56_tpt_56_halfLds_dp_op_CI_CI_unitstride_sbrr_dirReg
    .private_segment_fixed_size: 0
    .sgpr_count:     32
    .sgpr_spill_count: 0
    .symbol:         fft_rtc_fwd_len672_factors_2_2_2_2_2_3_7_wgs_56_tpt_56_halfLds_dp_op_CI_CI_unitstride_sbrr_dirReg.kd
    .uniform_work_group_size: 1
    .uses_dynamic_stack: false
    .vgpr_count:     121
    .vgpr_spill_count: 0
    .wavefront_size: 64
amdhsa.target:   amdgcn-amd-amdhsa--gfx906
amdhsa.version:
  - 1
  - 2
...

	.end_amdgpu_metadata
